;; amdgpu-corpus repo=zjin-lcf/HeCBench kind=compiled arch=gfx1250 opt=O3
	.amdgcn_target "amdgcn-amd-amdhsa--gfx1250"
	.amdhsa_code_object_version 6
	.text
	.protected	_Z24calNumEigenValueIntervalPjPKfS1_S1_j ; -- Begin function _Z24calNumEigenValueIntervalPjPKfS1_S1_j
	.globl	_Z24calNumEigenValueIntervalPjPKfS1_S1_j
	.p2align	8
	.type	_Z24calNumEigenValueIntervalPjPKfS1_S1_j,@function
_Z24calNumEigenValueIntervalPjPKfS1_S1_j: ; @_Z24calNumEigenValueIntervalPjPKfS1_S1_j
; %bb.0:
	s_load_b32 s2, s[0:1], 0x34
	s_bfe_u32 s3, ttmp6, 0x4000c
	s_and_b32 s12, ttmp6, 15
	s_add_co_i32 s3, s3, 1
	s_getreg_b32 s13, hwreg(HW_REG_IB_STS2, 6, 4)
	s_mul_i32 s3, ttmp9, s3
	s_load_b256 s[4:11], s[0:1], 0x0
	s_add_co_i32 s12, s12, s3
	s_wait_kmcnt 0x0
	s_and_b32 s2, s2, 0xffff
	s_cmp_eq_u32 s13, 0
	s_cselect_b32 s3, ttmp9, s12
	s_delay_alu instid0(SALU_CYCLE_1) | instskip(NEXT) | instid1(VALU_DEP_1)
	v_mad_u32 v2, s3, s2, v0
	v_dual_mov_b32 v1, 0 :: v_dual_lshlrev_b32 v0, 1, v2
	s_delay_alu instid0(VALU_DEP_1)
	v_lshl_add_u64 v[0:1], v[0:1], 2, s[6:7]
	global_load_b64 v[0:1], v[0:1], off
	s_load_b32 s13, s[8:9], 0x0
	s_load_b32 s12, s[0:1], 0x20
	s_wait_xcnt 0x0
	s_add_nc_u64 s[0:1], s[8:9], 4
	s_wait_kmcnt 0x0
	s_cmp_gt_u32 s12, 1
	s_cselect_b32 s14, -1, 0
	s_cmp_lt_u32 s12, 2
	s_wait_loadcnt 0x0
	v_sub_f32_e32 v4, s13, v0
	s_delay_alu instid0(VALU_DEP_1)
	v_cmp_gt_f32_e32 vcc_lo, 0, v4
	v_cndmask_b32_e64 v3, 0, 1, vcc_lo
	s_cbranch_scc1 .LBB0_3
; %bb.1:
	s_add_co_i32 s15, s12, -1
	s_add_nc_u64 s[2:3], s[8:9], 4
	s_mov_b64 s[6:7], s[10:11]
.LBB0_2:                                ; =>This Inner Loop Header: Depth=1
	s_load_b32 s8, s[6:7], 0x0
	s_load_b32 s9, s[2:3], 0x0
	s_add_co_i32 s15, s15, -1
	s_wait_xcnt 0x0
	s_add_nc_u64 s[6:7], s[6:7], 4
	s_cmp_lg_u32 s15, 0
	s_add_nc_u64 s[2:3], s[2:3], 4
	s_wait_kmcnt 0x0
	s_mul_f32 s8, s8, s8
	s_delay_alu instid0(SALU_CYCLE_3) | instskip(SKIP_1) | instid1(VALU_DEP_2)
	v_div_scale_f32 v5, null, v4, v4, s8
	v_div_scale_f32 v8, vcc_lo, s8, v4, s8
	v_rcp_f32_e32 v6, v5
	v_nop
	s_delay_alu instid0(TRANS32_DEP_1) | instskip(NEXT) | instid1(VALU_DEP_1)
	v_fma_f32 v7, -v5, v6, 1.0
	v_fmac_f32_e32 v6, v7, v6
	s_delay_alu instid0(VALU_DEP_1) | instskip(NEXT) | instid1(VALU_DEP_1)
	v_mul_f32_e32 v7, v8, v6
	v_fma_f32 v9, -v5, v7, v8
	s_delay_alu instid0(VALU_DEP_1) | instskip(NEXT) | instid1(VALU_DEP_1)
	v_fmac_f32_e32 v7, v9, v6
	v_fma_f32 v5, -v5, v7, v8
	s_delay_alu instid0(VALU_DEP_1) | instskip(SKIP_1) | instid1(VALU_DEP_2)
	v_div_fmas_f32 v5, v5, v6, v7
	v_sub_f32_e32 v6, s9, v0
	v_div_fixup_f32 v4, v5, v4, s8
	s_delay_alu instid0(VALU_DEP_1) | instskip(NEXT) | instid1(VALU_DEP_1)
	v_sub_f32_e32 v4, v6, v4
	v_cmp_gt_f32_e32 vcc_lo, 0, v4
	v_add_co_ci_u32_e64 v3, null, 0, v3, vcc_lo
	s_cbranch_scc1 .LBB0_2
.LBB0_3:
	v_sub_f32_e32 v4, s13, v1
	s_delay_alu instid0(VALU_DEP_1)
	v_cmp_gt_f32_e32 vcc_lo, 0, v4
	v_cndmask_b32_e64 v0, 0, 1, vcc_lo
	s_and_not1_b32 vcc_lo, exec_lo, s14
	s_cbranch_vccnz .LBB0_6
; %bb.4:
	s_add_co_i32 s2, s12, -1
.LBB0_5:                                ; =>This Inner Loop Header: Depth=1
	s_load_b32 s3, s[10:11], 0x0
	s_load_b32 s6, s[0:1], 0x0
	s_add_co_i32 s2, s2, -1
	s_wait_xcnt 0x0
	s_add_nc_u64 s[10:11], s[10:11], 4
	s_cmp_lg_u32 s2, 0
	s_add_nc_u64 s[0:1], s[0:1], 4
	s_wait_kmcnt 0x0
	s_mul_f32 s3, s3, s3
	s_delay_alu instid0(SALU_CYCLE_3) | instskip(SKIP_1) | instid1(VALU_DEP_2)
	v_div_scale_f32 v5, null, v4, v4, s3
	v_div_scale_f32 v8, vcc_lo, s3, v4, s3
	v_rcp_f32_e32 v6, v5
	v_nop
	s_delay_alu instid0(TRANS32_DEP_1) | instskip(NEXT) | instid1(VALU_DEP_1)
	v_fma_f32 v7, -v5, v6, 1.0
	v_fmac_f32_e32 v6, v7, v6
	s_delay_alu instid0(VALU_DEP_1) | instskip(NEXT) | instid1(VALU_DEP_1)
	v_mul_f32_e32 v7, v8, v6
	v_fma_f32 v9, -v5, v7, v8
	s_delay_alu instid0(VALU_DEP_1) | instskip(NEXT) | instid1(VALU_DEP_1)
	v_fmac_f32_e32 v7, v9, v6
	v_fma_f32 v5, -v5, v7, v8
	s_delay_alu instid0(VALU_DEP_1) | instskip(SKIP_1) | instid1(VALU_DEP_2)
	v_div_fmas_f32 v5, v5, v6, v7
	v_sub_f32_e32 v6, s6, v1
	v_div_fixup_f32 v4, v5, v4, s3
	s_delay_alu instid0(VALU_DEP_1) | instskip(NEXT) | instid1(VALU_DEP_1)
	v_sub_f32_e32 v4, v6, v4
	v_cmp_gt_f32_e32 vcc_lo, 0, v4
	v_add_co_ci_u32_e64 v0, null, 0, v0, vcc_lo
	s_cbranch_scc1 .LBB0_5
.LBB0_6:
	v_cvt_f32_u32_e32 v1, v3
	s_delay_alu instid0(VALU_DEP_2) | instskip(NEXT) | instid1(VALU_DEP_2)
	v_cvt_f32_u32_e32 v0, v0
	v_cvt_u32_f32_e32 v1, v1
	s_delay_alu instid0(VALU_DEP_2) | instskip(NEXT) | instid1(VALU_DEP_1)
	v_cvt_u32_f32_e32 v0, v0
	v_sub_nc_u32_e32 v0, v0, v1
	global_store_b32 v2, v0, s[4:5] scale_offset
	s_endpgm
	.section	.rodata,"a",@progbits
	.p2align	6, 0x0
	.amdhsa_kernel _Z24calNumEigenValueIntervalPjPKfS1_S1_j
		.amdhsa_group_segment_fixed_size 0
		.amdhsa_private_segment_fixed_size 0
		.amdhsa_kernarg_size 296
		.amdhsa_user_sgpr_count 2
		.amdhsa_user_sgpr_dispatch_ptr 0
		.amdhsa_user_sgpr_queue_ptr 0
		.amdhsa_user_sgpr_kernarg_segment_ptr 1
		.amdhsa_user_sgpr_dispatch_id 0
		.amdhsa_user_sgpr_kernarg_preload_length 0
		.amdhsa_user_sgpr_kernarg_preload_offset 0
		.amdhsa_user_sgpr_private_segment_size 0
		.amdhsa_wavefront_size32 1
		.amdhsa_uses_dynamic_stack 0
		.amdhsa_enable_private_segment 0
		.amdhsa_system_sgpr_workgroup_id_x 1
		.amdhsa_system_sgpr_workgroup_id_y 0
		.amdhsa_system_sgpr_workgroup_id_z 0
		.amdhsa_system_sgpr_workgroup_info 0
		.amdhsa_system_vgpr_workitem_id 0
		.amdhsa_next_free_vgpr 10
		.amdhsa_next_free_sgpr 16
		.amdhsa_named_barrier_count 0
		.amdhsa_reserve_vcc 1
		.amdhsa_float_round_mode_32 0
		.amdhsa_float_round_mode_16_64 0
		.amdhsa_float_denorm_mode_32 3
		.amdhsa_float_denorm_mode_16_64 3
		.amdhsa_fp16_overflow 0
		.amdhsa_memory_ordered 1
		.amdhsa_forward_progress 1
		.amdhsa_inst_pref_size 5
		.amdhsa_round_robin_scheduling 0
		.amdhsa_exception_fp_ieee_invalid_op 0
		.amdhsa_exception_fp_denorm_src 0
		.amdhsa_exception_fp_ieee_div_zero 0
		.amdhsa_exception_fp_ieee_overflow 0
		.amdhsa_exception_fp_ieee_underflow 0
		.amdhsa_exception_fp_ieee_inexact 0
		.amdhsa_exception_int_div_zero 0
	.end_amdhsa_kernel
	.text
.Lfunc_end0:
	.size	_Z24calNumEigenValueIntervalPjPKfS1_S1_j, .Lfunc_end0-_Z24calNumEigenValueIntervalPjPKfS1_S1_j
                                        ; -- End function
	.set _Z24calNumEigenValueIntervalPjPKfS1_S1_j.num_vgpr, 10
	.set _Z24calNumEigenValueIntervalPjPKfS1_S1_j.num_agpr, 0
	.set _Z24calNumEigenValueIntervalPjPKfS1_S1_j.numbered_sgpr, 16
	.set _Z24calNumEigenValueIntervalPjPKfS1_S1_j.num_named_barrier, 0
	.set _Z24calNumEigenValueIntervalPjPKfS1_S1_j.private_seg_size, 0
	.set _Z24calNumEigenValueIntervalPjPKfS1_S1_j.uses_vcc, 1
	.set _Z24calNumEigenValueIntervalPjPKfS1_S1_j.uses_flat_scratch, 0
	.set _Z24calNumEigenValueIntervalPjPKfS1_S1_j.has_dyn_sized_stack, 0
	.set _Z24calNumEigenValueIntervalPjPKfS1_S1_j.has_recursion, 0
	.set _Z24calNumEigenValueIntervalPjPKfS1_S1_j.has_indirect_call, 0
	.section	.AMDGPU.csdata,"",@progbits
; Kernel info:
; codeLenInByte = 600
; TotalNumSgprs: 18
; NumVgprs: 10
; ScratchSize: 0
; MemoryBound: 0
; FloatMode: 240
; IeeeMode: 1
; LDSByteSize: 0 bytes/workgroup (compile time only)
; SGPRBlocks: 0
; VGPRBlocks: 0
; NumSGPRsForWavesPerEU: 18
; NumVGPRsForWavesPerEU: 10
; NamedBarCnt: 0
; Occupancy: 16
; WaveLimiterHint : 0
; COMPUTE_PGM_RSRC2:SCRATCH_EN: 0
; COMPUTE_PGM_RSRC2:USER_SGPR: 2
; COMPUTE_PGM_RSRC2:TRAP_HANDLER: 0
; COMPUTE_PGM_RSRC2:TGID_X_EN: 1
; COMPUTE_PGM_RSRC2:TGID_Y_EN: 0
; COMPUTE_PGM_RSRC2:TGID_Z_EN: 0
; COMPUTE_PGM_RSRC2:TIDIG_COMP_CNT: 0
	.text
	.protected	_Z25recalculateEigenIntervalsPfPKfPKjS1_S1_jf ; -- Begin function _Z25recalculateEigenIntervalsPfPKfPKjS1_S1_jf
	.globl	_Z25recalculateEigenIntervalsPfPKfPKjS1_S1_jf
	.p2align	8
	.type	_Z25recalculateEigenIntervalsPfPKfPKjS1_S1_jf,@function
_Z25recalculateEigenIntervalsPfPKfPKjS1_S1_jf: ; @_Z25recalculateEigenIntervalsPfPKfPKjS1_S1_jf
; %bb.0:
	s_clause 0x2
	s_load_b128 s[4:7], s[0:1], 0x10
	s_load_b32 s8, s[0:1], 0x3c
	s_load_b64 s[2:3], s[0:1], 0x0
	s_bfe_u32 s9, ttmp6, 0x4000c
	s_and_b32 s11, ttmp6, 15
	s_add_co_i32 s9, s9, 1
	s_getreg_b32 s12, hwreg(HW_REG_IB_STS2, 6, 4)
	s_mul_i32 s9, ttmp9, s9
	s_delay_alu instid0(SALU_CYCLE_1)
	s_add_co_i32 s11, s11, s9
	s_wait_kmcnt 0x0
	s_load_b32 s10, s[4:5], 0x0
	s_and_b32 s13, s8, 0xffff
	s_cmp_eq_u32 s12, 0
	s_load_b64 s[8:9], s[0:1], 0x20
	s_cselect_b32 s11, ttmp9, s11
	s_mov_b32 s12, 0
	v_mad_u32 v2, s11, s13, v0
	v_mov_b64_e32 v[0:1], 0
	s_mov_b32 s11, exec_lo
	s_wait_kmcnt 0x0
	s_delay_alu instid0(VALU_DEP_2)
	v_dual_mov_b32 v4, v2 :: v_dual_mov_b32 v5, s10
	v_cmpx_le_u32_e64 s10, v2
	s_cbranch_execz .LBB1_4
; %bb.1:
	v_mov_b32_e32 v4, v2
	s_mov_b32 s13, 0
.LBB1_2:                                ; =>This Inner Loop Header: Depth=1
	s_delay_alu instid0(SALU_CYCLE_1) | instskip(NEXT) | instid1(VALU_DEP_1)
	s_add_co_i32 s13, s13, 1
	v_subrev_nc_u32_e32 v4, s10, v4
	s_load_b32 s10, s[4:5], s13 offset:0x0 scale_offset
	s_wait_kmcnt 0x0
	v_dual_mov_b32 v0, s13 :: v_dual_mov_b32 v5, s10
	s_delay_alu instid0(VALU_DEP_2) | instskip(SKIP_1) | instid1(SALU_CYCLE_1)
	v_cmp_gt_u32_e32 vcc_lo, s10, v4
	s_or_b32 s12, vcc_lo, s12
	s_and_not1_b32 exec_lo, exec_lo, s12
	s_cbranch_execnz .LBB1_2
; %bb.3:
	s_or_b32 exec_lo, exec_lo, s12
	v_dual_mov_b32 v1, 0 :: v_dual_lshlrev_b32 v0, 1, v0
.LBB1_4:
	s_or_b32 exec_lo, exec_lo, s11
	s_load_b64 s[4:5], s[0:1], 0x8
	s_wait_kmcnt 0x0
	s_delay_alu instid0(VALU_DEP_1)
	v_lshl_add_u64 v[0:1], v[0:1], 2, s[4:5]
	s_mov_b32 s4, exec_lo
	global_load_b64 v[0:1], v[0:1], off
	s_wait_loadcnt 0x0
	v_dual_sub_f32 v3, v1, v0 :: v_dual_lshlrev_b32 v2, 1, v2
	v_cmpx_ne_u32_e32 1, v5
	s_xor_b32 s4, exec_lo, s4
	s_cbranch_execz .LBB1_6
; %bb.5:
	v_cvt_f32_u32_e32 v1, v5
	v_cvt_f32_u32_e32 v4, v4
	s_delay_alu instid0(VALU_DEP_2) | instskip(SKIP_1) | instid1(VALU_DEP_2)
	v_div_scale_f32 v5, null, v1, v1, v3
	v_div_scale_f32 v8, vcc_lo, v3, v1, v3
	v_rcp_f32_e32 v6, v5
	v_nop
	s_delay_alu instid0(TRANS32_DEP_1) | instskip(NEXT) | instid1(VALU_DEP_1)
	v_fma_f32 v7, -v5, v6, 1.0
	v_fmac_f32_e32 v6, v7, v6
	s_delay_alu instid0(VALU_DEP_1) | instskip(NEXT) | instid1(VALU_DEP_1)
	v_mul_f32_e32 v7, v8, v6
	v_fma_f32 v9, -v5, v7, v8
	s_delay_alu instid0(VALU_DEP_1) | instskip(NEXT) | instid1(VALU_DEP_1)
	v_fmac_f32_e32 v7, v9, v6
	v_fma_f32 v5, -v5, v7, v8
	s_delay_alu instid0(VALU_DEP_1) | instskip(NEXT) | instid1(VALU_DEP_1)
	v_div_fmas_f32 v5, v5, v6, v7
	v_div_fixup_f32 v1, v5, v1, v3
	s_delay_alu instid0(VALU_DEP_1) | instskip(NEXT) | instid1(VALU_DEP_1)
	v_dual_mov_b32 v3, 0 :: v_dual_fmac_f32 v0, v1, v4
	v_lshl_add_u64 v[2:3], v[2:3], 2, s[2:3]
	s_delay_alu instid0(VALU_DEP_2)
	v_add_f32_e32 v1, v1, v0
	global_store_b64 v[2:3], v[0:1], off
                                        ; implicit-def: $vgpr2
                                        ; implicit-def: $vgpr0_vgpr1
                                        ; implicit-def: $vgpr3
.LBB1_6:
	s_wait_xcnt 0x0
	s_and_not1_saveexec_b32 s4, s4
	s_cbranch_execz .LBB1_21
; %bb.7:
	s_load_b32 s12, s[6:7], 0x0
	s_load_b64 s[4:5], s[0:1], 0x28
	v_add_f32_e32 v4, v1, v0
	s_wait_xcnt 0x0
	s_add_nc_u64 s[0:1], s[6:7], 4
	s_wait_kmcnt 0x0
	s_delay_alu instid0(VALU_DEP_1) | instskip(SKIP_3) | instid1(VALU_DEP_2)
	v_fma_f32 v6, v4, -0.5, s12
	v_mul_f32_e32 v4, 0.5, v4
	s_cmp_gt_u32 s4, 1
	s_cselect_b32 s13, -1, 0
	v_cmp_gt_f32_e32 vcc_lo, 0, v6
	s_cmp_lt_u32 s4, 2
	v_cndmask_b32_e64 v5, 0, 1, vcc_lo
	s_cbranch_scc1 .LBB1_10
; %bb.8:
	s_add_co_i32 s14, s4, -1
	s_add_nc_u64 s[6:7], s[6:7], 4
	s_mov_b64 s[10:11], s[8:9]
.LBB1_9:                                ; =>This Inner Loop Header: Depth=1
	s_load_b32 s15, s[10:11], 0x0
	s_load_b32 s16, s[6:7], 0x0
	s_add_co_i32 s14, s14, -1
	s_wait_xcnt 0x0
	s_add_nc_u64 s[10:11], s[10:11], 4
	s_cmp_lg_u32 s14, 0
	s_add_nc_u64 s[6:7], s[6:7], 4
	s_wait_kmcnt 0x0
	s_mul_f32 s15, s15, s15
	s_delay_alu instid0(SALU_CYCLE_3) | instskip(SKIP_1) | instid1(VALU_DEP_2)
	v_div_scale_f32 v7, null, v6, v6, s15
	v_div_scale_f32 v10, vcc_lo, s15, v6, s15
	v_rcp_f32_e32 v8, v7
	v_nop
	s_delay_alu instid0(TRANS32_DEP_1) | instskip(NEXT) | instid1(VALU_DEP_1)
	v_fma_f32 v9, -v7, v8, 1.0
	v_fmac_f32_e32 v8, v9, v8
	s_delay_alu instid0(VALU_DEP_1) | instskip(NEXT) | instid1(VALU_DEP_1)
	v_mul_f32_e32 v9, v10, v8
	v_fma_f32 v11, -v7, v9, v10
	s_delay_alu instid0(VALU_DEP_1) | instskip(NEXT) | instid1(VALU_DEP_1)
	v_fmac_f32_e32 v9, v11, v8
	v_fma_f32 v7, -v7, v9, v10
	s_delay_alu instid0(VALU_DEP_1) | instskip(SKIP_1) | instid1(VALU_DEP_2)
	v_div_fmas_f32 v7, v7, v8, v9
	v_sub_f32_e32 v8, s16, v4
	v_div_fixup_f32 v6, v7, v6, s15
	s_delay_alu instid0(VALU_DEP_1) | instskip(NEXT) | instid1(VALU_DEP_1)
	v_sub_f32_e32 v6, v8, v6
	v_cmp_gt_f32_e32 vcc_lo, 0, v6
	v_add_co_ci_u32_e64 v5, null, 0, v5, vcc_lo
	s_cbranch_scc1 .LBB1_9
.LBB1_10:
	v_sub_f32_e32 v7, s12, v0
	s_delay_alu instid0(VALU_DEP_1)
	v_cmp_gt_f32_e32 vcc_lo, 0, v7
	v_cndmask_b32_e64 v6, 0, 1, vcc_lo
	s_and_not1_b32 vcc_lo, exec_lo, s13
	s_cbranch_vccnz .LBB1_13
; %bb.11:
	s_add_co_i32 s4, s4, -1
.LBB1_12:                               ; =>This Inner Loop Header: Depth=1
	s_load_b32 s6, s[8:9], 0x0
	s_load_b32 s7, s[0:1], 0x0
	s_add_co_i32 s4, s4, -1
	s_wait_xcnt 0x0
	s_add_nc_u64 s[8:9], s[8:9], 4
	s_cmp_lg_u32 s4, 0
	s_add_nc_u64 s[0:1], s[0:1], 4
	s_wait_kmcnt 0x0
	s_mul_f32 s6, s6, s6
	s_delay_alu instid0(SALU_CYCLE_3) | instskip(SKIP_1) | instid1(VALU_DEP_2)
	v_div_scale_f32 v8, null, v7, v7, s6
	v_div_scale_f32 v11, vcc_lo, s6, v7, s6
	v_rcp_f32_e32 v9, v8
	v_nop
	s_delay_alu instid0(TRANS32_DEP_1) | instskip(NEXT) | instid1(VALU_DEP_1)
	v_fma_f32 v10, -v8, v9, 1.0
	v_fmac_f32_e32 v9, v10, v9
	s_delay_alu instid0(VALU_DEP_1) | instskip(NEXT) | instid1(VALU_DEP_1)
	v_mul_f32_e32 v10, v11, v9
	v_fma_f32 v12, -v8, v10, v11
	s_delay_alu instid0(VALU_DEP_1) | instskip(NEXT) | instid1(VALU_DEP_1)
	v_fmac_f32_e32 v10, v12, v9
	v_fma_f32 v8, -v8, v10, v11
	s_delay_alu instid0(VALU_DEP_1) | instskip(SKIP_1) | instid1(VALU_DEP_2)
	v_div_fmas_f32 v8, v8, v9, v10
	v_sub_f32_e32 v9, s7, v0
	v_div_fixup_f32 v7, v8, v7, s6
	s_delay_alu instid0(VALU_DEP_1) | instskip(NEXT) | instid1(VALU_DEP_1)
	v_sub_f32_e32 v7, v9, v7
	v_cmp_gt_f32_e32 vcc_lo, 0, v7
	v_add_co_ci_u32_e64 v6, null, 0, v6, vcc_lo
	s_cbranch_scc1 .LBB1_12
.LBB1_13:
	s_mov_b32 s0, exec_lo
	v_cmpx_ngt_f32_e32 s5, v3
	s_xor_b32 s0, exec_lo, s0
	s_cbranch_execz .LBB1_19
; %bb.14:
	v_mov_b32_e32 v3, 0
	v_cvt_f32_u32_e32 v5, v5
	v_cvt_f32_u32_e32 v6, v6
	s_mov_b32 s1, exec_lo
	s_delay_alu instid0(VALU_DEP_3) | instskip(NEXT) | instid1(VALU_DEP_2)
	v_lshl_add_u64 v[2:3], v[2:3], 2, s[2:3]
	v_cmpx_neq_f32_e32 v5, v6
	s_xor_b32 s1, exec_lo, s1
	s_cbranch_execz .LBB1_16
; %bb.15:
	v_mov_b32_e32 v1, v4
                                        ; implicit-def: $vgpr4
	global_store_b64 v[2:3], v[0:1], off
                                        ; implicit-def: $vgpr0_vgpr1
                                        ; implicit-def: $vgpr2_vgpr3
.LBB1_16:
	s_wait_xcnt 0x0
	s_and_not1_saveexec_b32 s1, s1
	s_cbranch_execz .LBB1_18
; %bb.17:
	v_mov_b32_e32 v5, v1
	global_store_b64 v[2:3], v[4:5], off
.LBB1_18:
	s_wait_xcnt 0x0
	s_or_b32 exec_lo, exec_lo, s1
                                        ; implicit-def: $vgpr2
                                        ; implicit-def: $vgpr0_vgpr1
.LBB1_19:
	s_and_not1_saveexec_b32 s0, s0
	s_cbranch_execz .LBB1_21
; %bb.20:
	v_mov_b32_e32 v3, 0
	s_delay_alu instid0(VALU_DEP_1)
	v_lshl_add_u64 v[2:3], v[2:3], 2, s[2:3]
	global_store_b64 v[2:3], v[0:1], off
.LBB1_21:
	s_endpgm
	.section	.rodata,"a",@progbits
	.p2align	6, 0x0
	.amdhsa_kernel _Z25recalculateEigenIntervalsPfPKfPKjS1_S1_jf
		.amdhsa_group_segment_fixed_size 0
		.amdhsa_private_segment_fixed_size 0
		.amdhsa_kernarg_size 304
		.amdhsa_user_sgpr_count 2
		.amdhsa_user_sgpr_dispatch_ptr 0
		.amdhsa_user_sgpr_queue_ptr 0
		.amdhsa_user_sgpr_kernarg_segment_ptr 1
		.amdhsa_user_sgpr_dispatch_id 0
		.amdhsa_user_sgpr_kernarg_preload_length 0
		.amdhsa_user_sgpr_kernarg_preload_offset 0
		.amdhsa_user_sgpr_private_segment_size 0
		.amdhsa_wavefront_size32 1
		.amdhsa_uses_dynamic_stack 0
		.amdhsa_enable_private_segment 0
		.amdhsa_system_sgpr_workgroup_id_x 1
		.amdhsa_system_sgpr_workgroup_id_y 0
		.amdhsa_system_sgpr_workgroup_id_z 0
		.amdhsa_system_sgpr_workgroup_info 0
		.amdhsa_system_vgpr_workitem_id 0
		.amdhsa_next_free_vgpr 13
		.amdhsa_next_free_sgpr 17
		.amdhsa_named_barrier_count 0
		.amdhsa_reserve_vcc 1
		.amdhsa_float_round_mode_32 0
		.amdhsa_float_round_mode_16_64 0
		.amdhsa_float_denorm_mode_32 3
		.amdhsa_float_denorm_mode_16_64 3
		.amdhsa_fp16_overflow 0
		.amdhsa_memory_ordered 1
		.amdhsa_forward_progress 1
		.amdhsa_inst_pref_size 9
		.amdhsa_round_robin_scheduling 0
		.amdhsa_exception_fp_ieee_invalid_op 0
		.amdhsa_exception_fp_denorm_src 0
		.amdhsa_exception_fp_ieee_div_zero 0
		.amdhsa_exception_fp_ieee_overflow 0
		.amdhsa_exception_fp_ieee_underflow 0
		.amdhsa_exception_fp_ieee_inexact 0
		.amdhsa_exception_int_div_zero 0
	.end_amdhsa_kernel
	.text
.Lfunc_end1:
	.size	_Z25recalculateEigenIntervalsPfPKfPKjS1_S1_jf, .Lfunc_end1-_Z25recalculateEigenIntervalsPfPKfPKjS1_S1_jf
                                        ; -- End function
	.set _Z25recalculateEigenIntervalsPfPKfPKjS1_S1_jf.num_vgpr, 13
	.set _Z25recalculateEigenIntervalsPfPKfPKjS1_S1_jf.num_agpr, 0
	.set _Z25recalculateEigenIntervalsPfPKfPKjS1_S1_jf.numbered_sgpr, 17
	.set _Z25recalculateEigenIntervalsPfPKfPKjS1_S1_jf.num_named_barrier, 0
	.set _Z25recalculateEigenIntervalsPfPKfPKjS1_S1_jf.private_seg_size, 0
	.set _Z25recalculateEigenIntervalsPfPKfPKjS1_S1_jf.uses_vcc, 1
	.set _Z25recalculateEigenIntervalsPfPKfPKjS1_S1_jf.uses_flat_scratch, 0
	.set _Z25recalculateEigenIntervalsPfPKfPKjS1_S1_jf.has_dyn_sized_stack, 0
	.set _Z25recalculateEigenIntervalsPfPKfPKjS1_S1_jf.has_recursion, 0
	.set _Z25recalculateEigenIntervalsPfPKfPKjS1_S1_jf.has_indirect_call, 0
	.section	.AMDGPU.csdata,"",@progbits
; Kernel info:
; codeLenInByte = 1044
; TotalNumSgprs: 19
; NumVgprs: 13
; ScratchSize: 0
; MemoryBound: 0
; FloatMode: 240
; IeeeMode: 1
; LDSByteSize: 0 bytes/workgroup (compile time only)
; SGPRBlocks: 0
; VGPRBlocks: 0
; NumSGPRsForWavesPerEU: 19
; NumVGPRsForWavesPerEU: 13
; NamedBarCnt: 0
; Occupancy: 16
; WaveLimiterHint : 0
; COMPUTE_PGM_RSRC2:SCRATCH_EN: 0
; COMPUTE_PGM_RSRC2:USER_SGPR: 2
; COMPUTE_PGM_RSRC2:TRAP_HANDLER: 0
; COMPUTE_PGM_RSRC2:TGID_X_EN: 1
; COMPUTE_PGM_RSRC2:TGID_Y_EN: 0
; COMPUTE_PGM_RSRC2:TGID_Z_EN: 0
; COMPUTE_PGM_RSRC2:TIDIG_COMP_CNT: 0
	.text
	.p2alignl 7, 3214868480
	.fill 96, 4, 3214868480
	.section	.AMDGPU.gpr_maximums,"",@progbits
	.set amdgpu.max_num_vgpr, 0
	.set amdgpu.max_num_agpr, 0
	.set amdgpu.max_num_sgpr, 0
	.text
	.type	__hip_cuid_b2b49fbc3239d955,@object ; @__hip_cuid_b2b49fbc3239d955
	.section	.bss,"aw",@nobits
	.globl	__hip_cuid_b2b49fbc3239d955
__hip_cuid_b2b49fbc3239d955:
	.byte	0                               ; 0x0
	.size	__hip_cuid_b2b49fbc3239d955, 1

	.ident	"AMD clang version 22.0.0git (https://github.com/RadeonOpenCompute/llvm-project roc-7.2.4 26084 f58b06dce1f9c15707c5f808fd002e18c2accf7e)"
	.section	".note.GNU-stack","",@progbits
	.addrsig
	.addrsig_sym __hip_cuid_b2b49fbc3239d955
	.amdgpu_metadata
---
amdhsa.kernels:
  - .args:
      - .actual_access:  write_only
        .address_space:  global
        .offset:         0
        .size:           8
        .value_kind:     global_buffer
      - .actual_access:  read_only
        .address_space:  global
        .offset:         8
        .size:           8
        .value_kind:     global_buffer
      - .actual_access:  read_only
        .address_space:  global
        .offset:         16
        .size:           8
        .value_kind:     global_buffer
      - .actual_access:  read_only
        .address_space:  global
        .offset:         24
        .size:           8
        .value_kind:     global_buffer
      - .offset:         32
        .size:           4
        .value_kind:     by_value
      - .offset:         40
        .size:           4
        .value_kind:     hidden_block_count_x
      - .offset:         44
        .size:           4
        .value_kind:     hidden_block_count_y
      - .offset:         48
        .size:           4
        .value_kind:     hidden_block_count_z
      - .offset:         52
        .size:           2
        .value_kind:     hidden_group_size_x
      - .offset:         54
        .size:           2
        .value_kind:     hidden_group_size_y
      - .offset:         56
        .size:           2
        .value_kind:     hidden_group_size_z
      - .offset:         58
        .size:           2
        .value_kind:     hidden_remainder_x
      - .offset:         60
        .size:           2
        .value_kind:     hidden_remainder_y
      - .offset:         62
        .size:           2
        .value_kind:     hidden_remainder_z
      - .offset:         80
        .size:           8
        .value_kind:     hidden_global_offset_x
      - .offset:         88
        .size:           8
        .value_kind:     hidden_global_offset_y
      - .offset:         96
        .size:           8
        .value_kind:     hidden_global_offset_z
      - .offset:         104
        .size:           2
        .value_kind:     hidden_grid_dims
    .group_segment_fixed_size: 0
    .kernarg_segment_align: 8
    .kernarg_segment_size: 296
    .language:       OpenCL C
    .language_version:
      - 2
      - 0
    .max_flat_workgroup_size: 1024
    .name:           _Z24calNumEigenValueIntervalPjPKfS1_S1_j
    .private_segment_fixed_size: 0
    .sgpr_count:     18
    .sgpr_spill_count: 0
    .symbol:         _Z24calNumEigenValueIntervalPjPKfS1_S1_j.kd
    .uniform_work_group_size: 1
    .uses_dynamic_stack: false
    .vgpr_count:     10
    .vgpr_spill_count: 0
    .wavefront_size: 32
  - .args:
      - .actual_access:  write_only
        .address_space:  global
        .offset:         0
        .size:           8
        .value_kind:     global_buffer
      - .actual_access:  read_only
        .address_space:  global
        .offset:         8
        .size:           8
        .value_kind:     global_buffer
      - .actual_access:  read_only
        .address_space:  global
        .offset:         16
        .size:           8
        .value_kind:     global_buffer
      - .actual_access:  read_only
        .address_space:  global
        .offset:         24
        .size:           8
        .value_kind:     global_buffer
      - .actual_access:  read_only
        .address_space:  global
        .offset:         32
        .size:           8
        .value_kind:     global_buffer
      - .offset:         40
        .size:           4
        .value_kind:     by_value
      - .offset:         44
        .size:           4
        .value_kind:     by_value
      - .offset:         48
        .size:           4
        .value_kind:     hidden_block_count_x
      - .offset:         52
        .size:           4
        .value_kind:     hidden_block_count_y
      - .offset:         56
        .size:           4
        .value_kind:     hidden_block_count_z
      - .offset:         60
        .size:           2
        .value_kind:     hidden_group_size_x
      - .offset:         62
        .size:           2
        .value_kind:     hidden_group_size_y
      - .offset:         64
        .size:           2
        .value_kind:     hidden_group_size_z
      - .offset:         66
        .size:           2
        .value_kind:     hidden_remainder_x
      - .offset:         68
        .size:           2
        .value_kind:     hidden_remainder_y
      - .offset:         70
        .size:           2
        .value_kind:     hidden_remainder_z
      - .offset:         88
        .size:           8
        .value_kind:     hidden_global_offset_x
      - .offset:         96
        .size:           8
        .value_kind:     hidden_global_offset_y
      - .offset:         104
        .size:           8
        .value_kind:     hidden_global_offset_z
      - .offset:         112
        .size:           2
        .value_kind:     hidden_grid_dims
    .group_segment_fixed_size: 0
    .kernarg_segment_align: 8
    .kernarg_segment_size: 304
    .language:       OpenCL C
    .language_version:
      - 2
      - 0
    .max_flat_workgroup_size: 1024
    .name:           _Z25recalculateEigenIntervalsPfPKfPKjS1_S1_jf
    .private_segment_fixed_size: 0
    .sgpr_count:     19
    .sgpr_spill_count: 0
    .symbol:         _Z25recalculateEigenIntervalsPfPKfPKjS1_S1_jf.kd
    .uniform_work_group_size: 1
    .uses_dynamic_stack: false
    .vgpr_count:     13
    .vgpr_spill_count: 0
    .wavefront_size: 32
amdhsa.target:   amdgcn-amd-amdhsa--gfx1250
amdhsa.version:
  - 1
  - 2
...

	.end_amdgpu_metadata
